;; amdgpu-corpus repo=ROCm/rocFFT kind=compiled arch=gfx1100 opt=O3
	.text
	.amdgcn_target "amdgcn-amd-amdhsa--gfx1100"
	.amdhsa_code_object_version 6
	.protected	fft_rtc_back_len384_factors_6_4_4_4_wgs_128_tpt_32_halfLds_half_op_CI_CI_unitstride_sbrr_dirReg ; -- Begin function fft_rtc_back_len384_factors_6_4_4_4_wgs_128_tpt_32_halfLds_half_op_CI_CI_unitstride_sbrr_dirReg
	.globl	fft_rtc_back_len384_factors_6_4_4_4_wgs_128_tpt_32_halfLds_half_op_CI_CI_unitstride_sbrr_dirReg
	.p2align	8
	.type	fft_rtc_back_len384_factors_6_4_4_4_wgs_128_tpt_32_halfLds_half_op_CI_CI_unitstride_sbrr_dirReg,@function
fft_rtc_back_len384_factors_6_4_4_4_wgs_128_tpt_32_halfLds_half_op_CI_CI_unitstride_sbrr_dirReg: ; @fft_rtc_back_len384_factors_6_4_4_4_wgs_128_tpt_32_halfLds_half_op_CI_CI_unitstride_sbrr_dirReg
; %bb.0:
	s_clause 0x2
	s_load_b128 s[8:11], s[0:1], 0x0
	s_load_b128 s[4:7], s[0:1], 0x58
	;; [unrolled: 1-line block ×3, first 2 shown]
	v_lshrrev_b32_e32 v11, 5, v0
	v_mov_b32_e32 v7, 0
	v_mov_b32_e32 v5, 0
	;; [unrolled: 1-line block ×3, first 2 shown]
	s_delay_alu instid0(VALU_DEP_4) | instskip(NEXT) | instid1(VALU_DEP_4)
	v_lshl_or_b32 v9, s15, 2, v11
	v_mov_b32_e32 v10, v7
	s_waitcnt lgkmcnt(0)
	v_cmp_lt_u64_e64 s2, s[10:11], 2
	s_delay_alu instid0(VALU_DEP_1)
	s_and_b32 vcc_lo, exec_lo, s2
	s_cbranch_vccnz .LBB0_8
; %bb.1:
	s_load_b64 s[2:3], s[0:1], 0x10
	v_mov_b32_e32 v5, 0
	v_mov_b32_e32 v6, 0
	s_add_u32 s12, s18, 8
	s_addc_u32 s13, s19, 0
	s_add_u32 s14, s16, 8
	s_delay_alu instid0(VALU_DEP_1)
	v_dual_mov_b32 v1, v5 :: v_dual_mov_b32 v2, v6
	s_addc_u32 s15, s17, 0
	s_mov_b64 s[22:23], 1
	s_waitcnt lgkmcnt(0)
	s_add_u32 s20, s2, 8
	s_addc_u32 s21, s3, 0
.LBB0_2:                                ; =>This Inner Loop Header: Depth=1
	s_load_b64 s[24:25], s[20:21], 0x0
                                        ; implicit-def: $vgpr3_vgpr4
	s_mov_b32 s2, exec_lo
	s_waitcnt lgkmcnt(0)
	v_or_b32_e32 v8, s25, v10
	s_delay_alu instid0(VALU_DEP_1)
	v_cmpx_ne_u64_e32 0, v[7:8]
	s_xor_b32 s3, exec_lo, s2
	s_cbranch_execz .LBB0_4
; %bb.3:                                ;   in Loop: Header=BB0_2 Depth=1
	v_cvt_f32_u32_e32 v3, s24
	v_cvt_f32_u32_e32 v4, s25
	s_sub_u32 s2, 0, s24
	s_subb_u32 s26, 0, s25
	s_delay_alu instid0(VALU_DEP_1) | instskip(NEXT) | instid1(VALU_DEP_1)
	v_fmac_f32_e32 v3, 0x4f800000, v4
	v_rcp_f32_e32 v3, v3
	s_waitcnt_depctr 0xfff
	v_mul_f32_e32 v3, 0x5f7ffffc, v3
	s_delay_alu instid0(VALU_DEP_1) | instskip(NEXT) | instid1(VALU_DEP_1)
	v_mul_f32_e32 v4, 0x2f800000, v3
	v_trunc_f32_e32 v4, v4
	s_delay_alu instid0(VALU_DEP_1) | instskip(SKIP_1) | instid1(VALU_DEP_2)
	v_fmac_f32_e32 v3, 0xcf800000, v4
	v_cvt_u32_f32_e32 v4, v4
	v_cvt_u32_f32_e32 v3, v3
	s_delay_alu instid0(VALU_DEP_2) | instskip(NEXT) | instid1(VALU_DEP_2)
	v_mul_lo_u32 v8, s2, v4
	v_mul_hi_u32 v12, s2, v3
	v_mul_lo_u32 v13, s26, v3
	s_delay_alu instid0(VALU_DEP_2) | instskip(SKIP_1) | instid1(VALU_DEP_2)
	v_add_nc_u32_e32 v8, v12, v8
	v_mul_lo_u32 v12, s2, v3
	v_add_nc_u32_e32 v8, v8, v13
	s_delay_alu instid0(VALU_DEP_2) | instskip(NEXT) | instid1(VALU_DEP_2)
	v_mul_hi_u32 v13, v3, v12
	v_mul_lo_u32 v14, v3, v8
	v_mul_hi_u32 v15, v3, v8
	v_mul_hi_u32 v16, v4, v12
	v_mul_lo_u32 v12, v4, v12
	v_mul_hi_u32 v17, v4, v8
	v_mul_lo_u32 v8, v4, v8
	v_add_co_u32 v13, vcc_lo, v13, v14
	v_add_co_ci_u32_e32 v14, vcc_lo, 0, v15, vcc_lo
	s_delay_alu instid0(VALU_DEP_2) | instskip(NEXT) | instid1(VALU_DEP_2)
	v_add_co_u32 v12, vcc_lo, v13, v12
	v_add_co_ci_u32_e32 v12, vcc_lo, v14, v16, vcc_lo
	v_add_co_ci_u32_e32 v13, vcc_lo, 0, v17, vcc_lo
	s_delay_alu instid0(VALU_DEP_2) | instskip(NEXT) | instid1(VALU_DEP_2)
	v_add_co_u32 v8, vcc_lo, v12, v8
	v_add_co_ci_u32_e32 v12, vcc_lo, 0, v13, vcc_lo
	s_delay_alu instid0(VALU_DEP_2) | instskip(NEXT) | instid1(VALU_DEP_2)
	v_add_co_u32 v3, vcc_lo, v3, v8
	v_add_co_ci_u32_e32 v4, vcc_lo, v4, v12, vcc_lo
	s_delay_alu instid0(VALU_DEP_2) | instskip(SKIP_1) | instid1(VALU_DEP_3)
	v_mul_hi_u32 v8, s2, v3
	v_mul_lo_u32 v13, s26, v3
	v_mul_lo_u32 v12, s2, v4
	s_delay_alu instid0(VALU_DEP_1) | instskip(SKIP_1) | instid1(VALU_DEP_2)
	v_add_nc_u32_e32 v8, v8, v12
	v_mul_lo_u32 v12, s2, v3
	v_add_nc_u32_e32 v8, v8, v13
	s_delay_alu instid0(VALU_DEP_2) | instskip(NEXT) | instid1(VALU_DEP_2)
	v_mul_hi_u32 v13, v3, v12
	v_mul_lo_u32 v14, v3, v8
	v_mul_hi_u32 v15, v3, v8
	v_mul_hi_u32 v16, v4, v12
	v_mul_lo_u32 v12, v4, v12
	v_mul_hi_u32 v17, v4, v8
	v_mul_lo_u32 v8, v4, v8
	v_add_co_u32 v13, vcc_lo, v13, v14
	v_add_co_ci_u32_e32 v14, vcc_lo, 0, v15, vcc_lo
	s_delay_alu instid0(VALU_DEP_2) | instskip(NEXT) | instid1(VALU_DEP_2)
	v_add_co_u32 v12, vcc_lo, v13, v12
	v_add_co_ci_u32_e32 v12, vcc_lo, v14, v16, vcc_lo
	v_add_co_ci_u32_e32 v13, vcc_lo, 0, v17, vcc_lo
	s_delay_alu instid0(VALU_DEP_2) | instskip(NEXT) | instid1(VALU_DEP_2)
	v_add_co_u32 v8, vcc_lo, v12, v8
	v_add_co_ci_u32_e32 v12, vcc_lo, 0, v13, vcc_lo
	s_delay_alu instid0(VALU_DEP_2) | instskip(NEXT) | instid1(VALU_DEP_2)
	v_add_co_u32 v8, vcc_lo, v3, v8
	v_add_co_ci_u32_e32 v16, vcc_lo, v4, v12, vcc_lo
	s_delay_alu instid0(VALU_DEP_2) | instskip(SKIP_1) | instid1(VALU_DEP_3)
	v_mul_hi_u32 v17, v9, v8
	v_mad_u64_u32 v[12:13], null, v10, v8, 0
	v_mad_u64_u32 v[3:4], null, v9, v16, 0
	;; [unrolled: 1-line block ×3, first 2 shown]
	s_delay_alu instid0(VALU_DEP_2) | instskip(NEXT) | instid1(VALU_DEP_3)
	v_add_co_u32 v3, vcc_lo, v17, v3
	v_add_co_ci_u32_e32 v4, vcc_lo, 0, v4, vcc_lo
	s_delay_alu instid0(VALU_DEP_2) | instskip(NEXT) | instid1(VALU_DEP_2)
	v_add_co_u32 v3, vcc_lo, v3, v12
	v_add_co_ci_u32_e32 v3, vcc_lo, v4, v13, vcc_lo
	v_add_co_ci_u32_e32 v4, vcc_lo, 0, v15, vcc_lo
	s_delay_alu instid0(VALU_DEP_2) | instskip(NEXT) | instid1(VALU_DEP_2)
	v_add_co_u32 v8, vcc_lo, v3, v14
	v_add_co_ci_u32_e32 v12, vcc_lo, 0, v4, vcc_lo
	s_delay_alu instid0(VALU_DEP_2) | instskip(SKIP_1) | instid1(VALU_DEP_3)
	v_mul_lo_u32 v13, s25, v8
	v_mad_u64_u32 v[3:4], null, s24, v8, 0
	v_mul_lo_u32 v14, s24, v12
	s_delay_alu instid0(VALU_DEP_2) | instskip(NEXT) | instid1(VALU_DEP_2)
	v_sub_co_u32 v3, vcc_lo, v9, v3
	v_add3_u32 v4, v4, v14, v13
	s_delay_alu instid0(VALU_DEP_1) | instskip(NEXT) | instid1(VALU_DEP_1)
	v_sub_nc_u32_e32 v13, v10, v4
	v_subrev_co_ci_u32_e64 v13, s2, s25, v13, vcc_lo
	v_add_co_u32 v14, s2, v8, 2
	s_delay_alu instid0(VALU_DEP_1) | instskip(SKIP_3) | instid1(VALU_DEP_3)
	v_add_co_ci_u32_e64 v15, s2, 0, v12, s2
	v_sub_co_u32 v16, s2, v3, s24
	v_sub_co_ci_u32_e32 v4, vcc_lo, v10, v4, vcc_lo
	v_subrev_co_ci_u32_e64 v13, s2, 0, v13, s2
	v_cmp_le_u32_e32 vcc_lo, s24, v16
	s_delay_alu instid0(VALU_DEP_3) | instskip(SKIP_1) | instid1(VALU_DEP_4)
	v_cmp_eq_u32_e64 s2, s25, v4
	v_cndmask_b32_e64 v16, 0, -1, vcc_lo
	v_cmp_le_u32_e32 vcc_lo, s25, v13
	v_cndmask_b32_e64 v17, 0, -1, vcc_lo
	v_cmp_le_u32_e32 vcc_lo, s24, v3
	;; [unrolled: 2-line block ×3, first 2 shown]
	v_cndmask_b32_e64 v18, 0, -1, vcc_lo
	v_cmp_eq_u32_e32 vcc_lo, s25, v13
	s_delay_alu instid0(VALU_DEP_2) | instskip(SKIP_3) | instid1(VALU_DEP_3)
	v_cndmask_b32_e64 v3, v18, v3, s2
	v_cndmask_b32_e32 v13, v17, v16, vcc_lo
	v_add_co_u32 v16, vcc_lo, v8, 1
	v_add_co_ci_u32_e32 v17, vcc_lo, 0, v12, vcc_lo
	v_cmp_ne_u32_e32 vcc_lo, 0, v13
	s_delay_alu instid0(VALU_DEP_2) | instskip(SKIP_1) | instid1(VALU_DEP_2)
	v_dual_cndmask_b32 v4, v17, v15 :: v_dual_cndmask_b32 v13, v16, v14
	v_cmp_ne_u32_e32 vcc_lo, 0, v3
	v_cndmask_b32_e32 v4, v12, v4, vcc_lo
	s_delay_alu instid0(VALU_DEP_3)
	v_cndmask_b32_e32 v3, v8, v13, vcc_lo
.LBB0_4:                                ;   in Loop: Header=BB0_2 Depth=1
	s_and_not1_saveexec_b32 s2, s3
	s_cbranch_execz .LBB0_6
; %bb.5:                                ;   in Loop: Header=BB0_2 Depth=1
	v_cvt_f32_u32_e32 v3, s24
	s_sub_i32 s3, 0, s24
	s_delay_alu instid0(VALU_DEP_1) | instskip(SKIP_2) | instid1(VALU_DEP_1)
	v_rcp_iflag_f32_e32 v3, v3
	s_waitcnt_depctr 0xfff
	v_mul_f32_e32 v3, 0x4f7ffffe, v3
	v_cvt_u32_f32_e32 v3, v3
	s_delay_alu instid0(VALU_DEP_1) | instskip(NEXT) | instid1(VALU_DEP_1)
	v_mul_lo_u32 v4, s3, v3
	v_mul_hi_u32 v4, v3, v4
	s_delay_alu instid0(VALU_DEP_1) | instskip(NEXT) | instid1(VALU_DEP_1)
	v_add_nc_u32_e32 v3, v3, v4
	v_mul_hi_u32 v3, v9, v3
	s_delay_alu instid0(VALU_DEP_1) | instskip(SKIP_1) | instid1(VALU_DEP_2)
	v_mul_lo_u32 v4, v3, s24
	v_add_nc_u32_e32 v8, 1, v3
	v_sub_nc_u32_e32 v4, v9, v4
	s_delay_alu instid0(VALU_DEP_1) | instskip(SKIP_1) | instid1(VALU_DEP_2)
	v_subrev_nc_u32_e32 v12, s24, v4
	v_cmp_le_u32_e32 vcc_lo, s24, v4
	v_cndmask_b32_e32 v4, v4, v12, vcc_lo
	v_cndmask_b32_e32 v3, v3, v8, vcc_lo
	s_delay_alu instid0(VALU_DEP_2) | instskip(NEXT) | instid1(VALU_DEP_2)
	v_cmp_le_u32_e32 vcc_lo, s24, v4
	v_add_nc_u32_e32 v8, 1, v3
	v_mov_b32_e32 v4, v7
	s_delay_alu instid0(VALU_DEP_2)
	v_cndmask_b32_e32 v3, v3, v8, vcc_lo
.LBB0_6:                                ;   in Loop: Header=BB0_2 Depth=1
	s_or_b32 exec_lo, exec_lo, s2
	s_delay_alu instid0(VALU_DEP_2) | instskip(NEXT) | instid1(VALU_DEP_2)
	v_mul_lo_u32 v8, v4, s24
	v_mul_lo_u32 v14, v3, s25
	s_load_b64 s[2:3], s[14:15], 0x0
	v_mad_u64_u32 v[12:13], null, v3, s24, 0
	s_load_b64 s[24:25], s[12:13], 0x0
	s_add_u32 s22, s22, 1
	s_addc_u32 s23, s23, 0
	s_add_u32 s12, s12, 8
	s_addc_u32 s13, s13, 0
	s_add_u32 s14, s14, 8
	s_delay_alu instid0(VALU_DEP_1) | instskip(SKIP_3) | instid1(VALU_DEP_2)
	v_add3_u32 v8, v13, v14, v8
	v_sub_co_u32 v14, vcc_lo, v9, v12
	s_addc_u32 s15, s15, 0
	s_add_u32 s20, s20, 8
	v_sub_co_ci_u32_e32 v10, vcc_lo, v10, v8, vcc_lo
	s_addc_u32 s21, s21, 0
	s_waitcnt lgkmcnt(0)
	s_delay_alu instid0(VALU_DEP_1)
	v_mul_lo_u32 v15, s2, v10
	v_mul_lo_u32 v16, s3, v14
	v_mad_u64_u32 v[8:9], null, s2, v14, v[5:6]
	v_mul_lo_u32 v10, s24, v10
	v_mul_lo_u32 v17, s25, v14
	v_mad_u64_u32 v[12:13], null, s24, v14, v[1:2]
	v_cmp_ge_u64_e64 s2, s[22:23], s[10:11]
	v_add3_u32 v6, v16, v9, v15
	v_mov_b32_e32 v5, v8
	s_delay_alu instid0(VALU_DEP_4)
	v_add3_u32 v2, v17, v13, v10
	v_mov_b32_e32 v1, v12
	s_and_b32 vcc_lo, exec_lo, s2
	s_cbranch_vccnz .LBB0_9
; %bb.7:                                ;   in Loop: Header=BB0_2 Depth=1
	v_dual_mov_b32 v10, v4 :: v_dual_mov_b32 v9, v3
	s_branch .LBB0_2
.LBB0_8:
	v_dual_mov_b32 v1, v5 :: v_dual_mov_b32 v2, v6
	v_dual_mov_b32 v3, v9 :: v_dual_mov_b32 v4, v10
.LBB0_9:
	s_load_b64 s[0:1], s[0:1], 0x28
	s_lshl_b64 s[10:11], s[10:11], 3
	v_and_b32_e32 v7, 31, v0
	s_add_u32 s2, s18, s10
	s_addc_u32 s3, s19, s11
                                        ; implicit-def: $vgpr8
                                        ; implicit-def: $vgpr9
	s_waitcnt lgkmcnt(0)
	v_cmp_gt_u64_e32 vcc_lo, s[0:1], v[3:4]
	v_cmp_le_u64_e64 s0, s[0:1], v[3:4]
	s_delay_alu instid0(VALU_DEP_1) | instskip(NEXT) | instid1(SALU_CYCLE_1)
	s_and_saveexec_b32 s1, s0
	s_xor_b32 s0, exec_lo, s1
; %bb.10:
	v_and_b32_e32 v7, 31, v0
                                        ; implicit-def: $vgpr5_vgpr6
	s_delay_alu instid0(VALU_DEP_1)
	v_or_b32_e32 v8, 32, v7
	v_or_b32_e32 v9, 64, v7
; %bb.11:
	s_or_saveexec_b32 s1, s0
                                        ; implicit-def: $vgpr22
                                        ; implicit-def: $vgpr14
                                        ; implicit-def: $vgpr26
                                        ; implicit-def: $vgpr16
                                        ; implicit-def: $vgpr33
                                        ; implicit-def: $vgpr27
                                        ; implicit-def: $vgpr31
                                        ; implicit-def: $vgpr28
                                        ; implicit-def: $vgpr32
                                        ; implicit-def: $vgpr29
                                        ; implicit-def: $vgpr30
                                        ; implicit-def: $vgpr25
                                        ; implicit-def: $vgpr0
                                        ; implicit-def: $vgpr10
                                        ; implicit-def: $vgpr13
                                        ; implicit-def: $vgpr12
                                        ; implicit-def: $vgpr24
                                        ; implicit-def: $vgpr20
                                        ; implicit-def: $vgpr19
                                        ; implicit-def: $vgpr15
                                        ; implicit-def: $vgpr21
                                        ; implicit-def: $vgpr23
                                        ; implicit-def: $vgpr18
                                        ; implicit-def: $vgpr17
	s_delay_alu instid0(SALU_CYCLE_1)
	s_xor_b32 exec_lo, exec_lo, s1
	s_cbranch_execz .LBB0_13
; %bb.12:
	s_add_u32 s10, s16, s10
	s_addc_u32 s11, s17, s11
	v_lshlrev_b64 v[5:6], 2, v[5:6]
	s_load_b64 s[10:11], s[10:11], 0x0
	s_waitcnt lgkmcnt(0)
	v_mul_lo_u32 v0, s11, v3
	v_mul_lo_u32 v10, s10, v4
	v_mad_u64_u32 v[8:9], null, s10, v3, 0
	s_delay_alu instid0(VALU_DEP_1) | instskip(NEXT) | instid1(VALU_DEP_1)
	v_add3_u32 v9, v9, v10, v0
	v_lshlrev_b64 v[8:9], 2, v[8:9]
	s_delay_alu instid0(VALU_DEP_1) | instskip(NEXT) | instid1(VALU_DEP_1)
	v_add_co_u32 v0, s0, s4, v8
	v_add_co_ci_u32_e64 v8, s0, s5, v9, s0
	v_lshlrev_b32_e32 v9, 2, v7
	s_delay_alu instid0(VALU_DEP_3) | instskip(NEXT) | instid1(VALU_DEP_1)
	v_add_co_u32 v0, s0, v0, v5
	v_add_co_ci_u32_e64 v6, s0, v8, v6, s0
	v_or_b32_e32 v8, 32, v7
	s_delay_alu instid0(VALU_DEP_3) | instskip(NEXT) | instid1(VALU_DEP_1)
	v_add_co_u32 v5, s0, v0, v9
	v_add_co_ci_u32_e64 v6, s0, 0, v6, s0
	v_or_b32_e32 v9, 64, v7
	s_clause 0xb
	global_load_b32 v14, v[5:6], off
	global_load_b32 v16, v[5:6], off offset:256
	global_load_b32 v27, v[5:6], off offset:512
	;; [unrolled: 1-line block ×11, first 2 shown]
	s_waitcnt vmcnt(11)
	v_lshrrev_b32_e32 v22, 16, v14
	s_waitcnt vmcnt(10)
	v_lshrrev_b32_e32 v26, 16, v16
	;; [unrolled: 2-line block ×12, first 2 shown]
.LBB0_13:
	s_or_b32 exec_lo, exec_lo, s1
	v_add_f16_e32 v5, v27, v29
	v_add_f16_e32 v6, v14, v27
	;; [unrolled: 1-line block ×3, first 2 shown]
	v_sub_f16_e32 v27, v27, v29
	v_add_f16_e32 v35, v26, v31
	v_fmac_f16_e32 v14, -0.5, v5
	v_sub_f16_e32 v5, v33, v32
	v_add_f16_e32 v6, v6, v29
	v_add_f16_e32 v33, v22, v33
	v_fmac_f16_e32 v22, -0.5, v34
	v_add_f16_e32 v34, v28, v25
	v_fmamk_f16 v29, v5, 0xbaee, v14
	v_fmac_f16_e32 v14, 0x3aee, v5
	v_add_f16_e32 v5, v31, v30
	v_add_f16_e32 v32, v33, v32
	v_fmamk_f16 v33, v27, 0x3aee, v22
	v_sub_f16_e32 v31, v31, v30
	v_fmac_f16_e32 v22, 0xbaee, v27
	v_fmac_f16_e32 v26, -0.5, v5
	v_sub_f16_e32 v5, v28, v25
	v_add_f16_e32 v28, v16, v28
	v_fmac_f16_e32 v16, -0.5, v34
	v_add_f16_e32 v30, v35, v30
	v_mul_u32_u24_e32 v11, 0x180, v11
	v_fmamk_f16 v27, v5, 0x3aee, v26
	v_fmac_f16_e32 v26, 0xbaee, v5
	v_add_f16_e32 v5, v28, v25
	v_fmamk_f16 v25, v31, 0xbaee, v16
	v_fmac_f16_e32 v16, 0x3aee, v31
	v_mul_f16_e32 v28, 0xbaee, v27
	v_mul_f16_e32 v31, 0xbaee, v26
	v_mul_f16_e32 v26, -0.5, v26
	v_mul_f16_e32 v34, 0x3aee, v25
	v_add_f16_e32 v35, v32, v30
	v_fmac_f16_e32 v28, 0.5, v25
	v_fmac_f16_e32 v31, -0.5, v16
	v_fmac_f16_e32 v26, 0x3aee, v16
	v_add_f16_e32 v25, v6, v5
	v_sub_f16_e32 v5, v6, v5
	v_add_f16_e32 v16, v29, v28
	v_sub_f16_e32 v6, v29, v28
	v_add_f16_e32 v37, v22, v26
	v_add_f16_e32 v29, v20, v23
	v_sub_f16_e32 v22, v22, v26
	v_add_f16_e32 v26, v24, v21
	v_fmac_f16_e32 v34, 0.5, v27
	v_add_f16_e32 v27, v14, v31
	v_sub_f16_e32 v14, v14, v31
	v_add_f16_e32 v31, v10, v20
	v_fmac_f16_e32 v10, -0.5, v29
	v_sub_f16_e32 v29, v24, v21
	v_add_f16_e32 v24, v0, v24
	v_fmac_f16_e32 v0, -0.5, v26
	v_add_f16_e32 v26, v19, v18
	v_sub_f16_e32 v28, v32, v30
	v_add_f16_e32 v31, v31, v23
	v_sub_f16_e32 v20, v20, v23
	v_fmamk_f16 v23, v29, 0xbaee, v10
	v_fmac_f16_e32 v10, 0x3aee, v29
	v_add_f16_e32 v29, v15, v17
	v_add_f16_e32 v32, v13, v19
	v_fmac_f16_e32 v13, -0.5, v26
	v_sub_f16_e32 v26, v15, v17
	v_add_f16_e32 v21, v24, v21
	v_fmamk_f16 v24, v20, 0x3aee, v0
	v_add_f16_e32 v15, v12, v15
	v_fmac_f16_e32 v12, -0.5, v29
	v_sub_f16_e32 v19, v19, v18
	v_fmac_f16_e32 v0, 0xbaee, v20
	v_fmamk_f16 v20, v26, 0x3aee, v13
	v_fmac_f16_e32 v13, 0xbaee, v26
	v_add_f16_e32 v15, v15, v17
	v_fmamk_f16 v17, v19, 0xbaee, v12
	v_fmac_f16_e32 v12, 0x3aee, v19
	v_mul_f16_e32 v19, 0xbaee, v20
	v_mul_f16_e32 v26, 0xbaee, v13
	v_add_f16_e32 v18, v32, v18
	v_mul_f16_e32 v32, -0.5, v13
	v_mul_f16_e32 v29, 0x3aee, v17
	v_fmac_f16_e32 v19, 0.5, v17
	v_fmac_f16_e32 v26, -0.5, v12
	v_lshl_add_u32 v13, v11, 1, 0
	v_fmac_f16_e32 v32, 0x3aee, v12
	v_add_f16_e32 v17, v31, v15
	v_add_f16_e32 v12, v23, v19
	v_sub_f16_e32 v19, v23, v19
	v_mul_u32_u24_e32 v23, 6, v7
	v_fmac_f16_e32 v29, 0.5, v20
	v_add_f16_e32 v20, v10, v26
	v_sub_f16_e32 v15, v31, v15
	v_mul_i32_i24_e32 v11, 6, v8
	v_sub_f16_e32 v10, v10, v26
	v_lshl_add_u32 v23, v23, 1, v13
	v_pack_b32_f16 v5, v27, v5
	v_pack_b32_f16 v16, v25, v16
	;; [unrolled: 1-line block ×3, first 2 shown]
	v_lshl_add_u32 v14, v11, 1, v13
	v_pack_b32_f16 v11, v20, v15
	v_pack_b32_f16 v12, v17, v12
	;; [unrolled: 1-line block ×3, first 2 shown]
	s_load_b64 s[2:3], s[2:3], 0x0
	ds_store_2addr_b32 v23, v16, v5 offset1:1
	ds_store_b32 v23, v6 offset:8
	ds_store_2addr_b32 v14, v12, v11 offset1:1
	ds_store_b32 v14, v10 offset:8
	v_and_b32_e32 v5, 0xff, v7
	v_and_b32_e32 v6, 0xff, v8
	;; [unrolled: 1-line block ×3, first 2 shown]
	v_add_f16_e32 v36, v33, v34
	v_sub_f16_e32 v30, v33, v34
	v_mul_lo_u16 v5, 0xab, v5
	v_add_f16_e32 v33, v21, v18
	v_add_f16_e32 v34, v24, v29
	v_sub_f16_e32 v18, v21, v18
	v_sub_f16_e32 v21, v24, v29
	v_lshrrev_b16 v24, 10, v5
	v_mul_lo_u16 v45, 0xab, v6
	v_mul_lo_u16 v46, 0xab, v16
	v_pack_b32_f16 v5, v37, v28
	v_pack_b32_f16 v17, v30, v22
	v_mul_lo_u16 v6, v24, 6
	v_lshrrev_b16 v28, 10, v45
	v_lshrrev_b16 v37, 10, v46
	v_add_f16_e32 v38, v0, v32
	v_sub_f16_e32 v15, v0, v32
	v_sub_nc_u16 v30, v7, v6
	v_mul_lo_u16 v6, v28, 6
	v_lshl_add_u32 v0, v7, 1, v13
	v_mad_i32_i24 v10, v7, -10, v23
	v_pack_b32_f16 v16, v35, v36
	v_mul_lo_u16 v19, v37, 6
	v_mad_i32_i24 v11, v8, -10, v14
	v_sub_nc_u16 v6, v8, v6
	s_waitcnt lgkmcnt(0)
	s_barrier
	buffer_gl0_inv
	v_lshl_add_u32 v12, v9, 1, v13
	ds_load_u16 v25, v0
	ds_load_u16 v26, v10 offset:192
	ds_load_u16 v27, v10 offset:256
	;; [unrolled: 1-line block ×4, first 2 shown]
	ds_load_u16 v32, v12
	ds_load_u16 v39, v10 offset:576
	ds_load_u16 v40, v10 offset:512
	;; [unrolled: 1-line block ×4, first 2 shown]
	ds_load_u16 v43, v11
	ds_load_u16 v44, v10 offset:704
	s_waitcnt lgkmcnt(0)
	s_barrier
	buffer_gl0_inv
	ds_store_2addr_b32 v23, v16, v5 offset1:1
	ds_store_b32 v23, v17 offset:8
	v_mul_lo_u16 v16, v30, 3
	v_sub_nc_u16 v17, v9, v19
	v_pack_b32_f16 v5, v38, v18
	v_pack_b32_f16 v18, v33, v34
	v_and_b32_e32 v33, 0xff, v6
	v_pack_b32_f16 v15, v21, v15
	v_and_b32_e32 v6, 0xff, v16
	v_and_b32_e32 v34, 0xff, v17
	ds_store_2addr_b32 v14, v18, v5 offset1:1
	ds_store_b32 v14, v15 offset:8
	v_mul_u32_u24_e32 v5, 3, v33
	v_lshlrev_b32_e32 v6, 2, v6
	v_mul_u32_u24_e32 v17, 3, v34
	s_waitcnt lgkmcnt(0)
	s_barrier
	v_lshlrev_b32_e32 v5, 2, v5
	buffer_gl0_inv
	global_load_b96 v[14:16], v6, s[8:9]
	v_lshlrev_b32_e32 v6, 2, v17
	s_clause 0x1
	global_load_b96 v[17:19], v5, s[8:9]
	global_load_b96 v[20:22], v6, s[8:9]
	v_mov_b32_e32 v6, 0
	v_subrev_nc_u32_e32 v5, 24, v7
	v_cmp_gt_u32_e64 s0, 24, v7
	v_lshrrev_b16 v36, 12, v45
	v_lshrrev_b16 v38, 12, v46
	v_and_b32_e32 v28, 0xffff, v28
	v_and_b32_e32 v37, 0xffff, v37
	v_cndmask_b32_e64 v35, v5, v7, s0
	v_mul_lo_u16 v46, v36, 24
	v_mul_lo_u16 v47, v38, 24
	;; [unrolled: 1-line block ×3, first 2 shown]
	s_delay_alu instid0(VALU_DEP_4) | instskip(NEXT) | instid1(VALU_DEP_2)
	v_mul_i32_i24_e32 v5, 3, v35
	v_or_b32_e32 v30, v45, v30
	s_delay_alu instid0(VALU_DEP_2)
	v_lshlrev_b64 v[23:24], 2, v[5:6]
	v_mul_u32_u24_e32 v5, 24, v28
	v_mul_u32_u24_e32 v28, 24, v37
	v_sub_nc_u16 v37, v8, v46
	v_sub_nc_u16 v46, v9, v47
	v_and_b32_e32 v30, 0xff, v30
	v_add_co_u32 v23, s0, s8, v23
	s_delay_alu instid0(VALU_DEP_4) | instskip(NEXT) | instid1(VALU_DEP_4)
	v_and_b32_e32 v37, 0xff, v37
	v_and_b32_e32 v45, 0xff, v46
	ds_load_u16 v46, v0
	ds_load_u16 v47, v10 offset:192
	ds_load_u16 v48, v10 offset:256
	;; [unrolled: 1-line block ×4, first 2 shown]
	ds_load_u16 v51, v12
	ds_load_u16 v52, v10 offset:576
	ds_load_u16 v53, v10 offset:512
	;; [unrolled: 1-line block ×4, first 2 shown]
	ds_load_u16 v56, v11
	ds_load_u16 v57, v10 offset:704
	v_or_b32_e32 v5, v5, v33
	v_add_co_ci_u32_e64 v24, s0, s9, v24, s0
	v_mul_u32_u24_e32 v33, 3, v37
	v_or_b32_e32 v28, v28, v34
	v_mul_u32_u24_e32 v34, 3, v45
	v_lshl_add_u32 v30, v30, 1, v13
	v_lshl_add_u32 v5, v5, 1, v13
	v_lshlrev_b32_e32 v33, 2, v33
	v_lshl_add_u32 v28, v28, 1, v13
	s_waitcnt vmcnt(0) lgkmcnt(0)
	s_barrier
	buffer_gl0_inv
	v_cmp_lt_u32_e64 s0, 23, v7
	v_lshrrev_b32_e32 v58, 16, v14
	v_lshrrev_b32_e32 v59, 16, v15
	;; [unrolled: 1-line block ×9, first 2 shown]
	v_mul_f16_e32 v67, v47, v58
	v_mul_f16_e32 v58, v26, v58
	;; [unrolled: 1-line block ×18, first 2 shown]
	v_fmac_f16_e32 v67, v26, v14
	v_fma_f16 v14, v47, v14, -v58
	v_fmac_f16_e32 v68, v41, v15
	v_fma_f16 v15, v54, v15, -v59
	;; [unrolled: 2-line block ×6, first 2 shown]
	v_fmac_f16_e32 v73, v42, v20
	v_fmac_f16_e32 v74, v40, v21
	;; [unrolled: 1-line block ×3, first 2 shown]
	v_fma_f16 v20, v55, v20, -v64
	v_fma_f16 v21, v53, v21, -v65
	;; [unrolled: 1-line block ×3, first 2 shown]
	v_sub_f16_e32 v26, v25, v68
	v_sub_f16_e32 v15, v46, v15
	v_sub_f16_e32 v27, v67, v69
	v_sub_f16_e32 v16, v14, v16
	v_sub_f16_e32 v29, v43, v71
	v_sub_f16_e32 v18, v56, v18
	v_sub_f16_e32 v31, v70, v72
	v_sub_f16_e32 v19, v17, v19
	v_sub_f16_e32 v39, v32, v74
	v_sub_f16_e32 v40, v73, v75
	v_sub_f16_e32 v21, v51, v21
	v_sub_f16_e32 v22, v20, v22
	v_fma_f16 v25, v25, 2.0, -v26
	v_fma_f16 v41, v46, 2.0, -v15
	;; [unrolled: 1-line block ×12, first 2 shown]
	v_sub_f16_e32 v42, v25, v42
	v_sub_f16_e32 v14, v41, v14
	v_add_f16_e32 v16, v26, v16
	v_sub_f16_e32 v27, v15, v27
	v_add_f16_e32 v19, v29, v19
	v_add_f16_e32 v22, v39, v22
	v_sub_f16_e32 v46, v43, v46
	v_sub_f16_e32 v17, v44, v17
	;; [unrolled: 1-line block ×6, first 2 shown]
	v_fma_f16 v25, v25, 2.0, -v42
	v_fma_f16 v41, v41, 2.0, -v14
	;; [unrolled: 1-line block ×12, first 2 shown]
	ds_store_b16 v30, v25
	ds_store_b16 v30, v26 offset:12
	ds_store_b16 v30, v42 offset:24
	ds_store_b16 v30, v16 offset:36
	ds_store_b16 v5, v43
	ds_store_b16 v5, v29 offset:12
	ds_store_b16 v5, v46 offset:24
	ds_store_b16 v5, v19 offset:36
	;; [unrolled: 4-line block ×3, first 2 shown]
	s_waitcnt lgkmcnt(0)
	s_barrier
	buffer_gl0_inv
	ds_load_u16 v25, v0
	ds_load_u16 v26, v10 offset:192
	ds_load_u16 v29, v10 offset:256
	;; [unrolled: 1-line block ×4, first 2 shown]
	ds_load_u16 v42, v12
	ds_load_u16 v43, v10 offset:576
	ds_load_u16 v46, v10 offset:512
	;; [unrolled: 1-line block ×4, first 2 shown]
	ds_load_u16 v50, v11
	ds_load_u16 v51, v10 offset:704
	s_waitcnt lgkmcnt(0)
	s_barrier
	buffer_gl0_inv
	ds_store_b16 v30, v41
	ds_store_b16 v30, v15 offset:12
	ds_store_b16 v30, v14 offset:24
	ds_store_b16 v30, v27 offset:36
	ds_store_b16 v5, v44
	ds_store_b16 v5, v18 offset:12
	ds_store_b16 v5, v17 offset:24
	ds_store_b16 v5, v31 offset:36
	;; [unrolled: 4-line block ×3, first 2 shown]
	s_waitcnt lgkmcnt(0)
	s_barrier
	buffer_gl0_inv
	global_load_b96 v[14:16], v[23:24], off offset:72
	v_lshlrev_b32_e32 v5, 2, v34
	s_clause 0x1
	global_load_b96 v[17:19], v33, s[8:9] offset:72
	global_load_b96 v[20:22], v5, s[8:9] offset:72
	v_and_b32_e32 v5, 0xffff, v36
	v_and_b32_e32 v23, 0xffff, v38
	v_cndmask_b32_e64 v24, 0, 0x60, s0
	s_delay_alu instid0(VALU_DEP_3) | instskip(NEXT) | instid1(VALU_DEP_3)
	v_mul_u32_u24_e32 v5, 0x60, v5
	v_mul_u32_u24_e32 v23, 0x60, v23
	s_delay_alu instid0(VALU_DEP_3) | instskip(NEXT) | instid1(VALU_DEP_3)
	v_or_b32_e32 v24, v24, v35
	v_or_b32_e32 v5, v5, v37
	s_delay_alu instid0(VALU_DEP_3) | instskip(NEXT) | instid1(VALU_DEP_3)
	v_or_b32_e32 v23, v23, v45
	v_lshl_add_u32 v27, v24, 1, v13
	s_delay_alu instid0(VALU_DEP_3) | instskip(NEXT) | instid1(VALU_DEP_3)
	v_lshl_add_u32 v5, v5, 1, v13
	v_lshl_add_u32 v28, v23, 1, v13
	ds_load_u16 v13, v0
	ds_load_u16 v23, v10 offset:192
	ds_load_u16 v24, v10 offset:256
	;; [unrolled: 1-line block ×5, first 2 shown]
	ds_load_u16 v34, v12
	ds_load_u16 v35, v10 offset:576
	ds_load_u16 v36, v10 offset:512
	;; [unrolled: 1-line block ×3, first 2 shown]
	ds_load_u16 v38, v11
	ds_load_u16 v40, v10 offset:704
	s_waitcnt vmcnt(0) lgkmcnt(0)
	s_barrier
	buffer_gl0_inv
	v_lshrrev_b32_e32 v41, 16, v14
	v_lshrrev_b32_e32 v44, 16, v15
	;; [unrolled: 1-line block ×9, first 2 shown]
	v_mul_f16_e32 v57, v23, v41
	v_mul_f16_e32 v58, v30, v44
	;; [unrolled: 1-line block ×16, first 2 shown]
	v_fmac_f16_e32 v57, v26, v14
	v_fmac_f16_e32 v58, v48, v15
	;; [unrolled: 1-line block ×3, first 2 shown]
	v_mul_f16_e32 v54, v49, v54
	v_mul_f16_e32 v56, v51, v56
	v_fma_f16 v14, v23, v14, -v41
	v_fma_f16 v15, v30, v15, -v44
	;; [unrolled: 1-line block ×3, first 2 shown]
	v_fmac_f16_e32 v60, v29, v17
	v_fma_f16 v17, v24, v17, -v47
	v_fmac_f16_e32 v61, v32, v18
	v_fma_f16 v18, v31, v18, -v52
	v_fmac_f16_e32 v62, v39, v19
	v_fma_f16 v19, v33, v19, -v53
	v_fmac_f16_e32 v63, v49, v20
	v_fmac_f16_e32 v64, v46, v21
	v_fma_f16 v21, v36, v21, -v55
	v_fmac_f16_e32 v65, v51, v22
	v_sub_f16_e32 v23, v25, v58
	v_sub_f16_e32 v24, v57, v59
	v_fma_f16 v20, v37, v20, -v54
	v_fma_f16 v22, v40, v22, -v56
	v_sub_f16_e32 v15, v13, v15
	v_sub_f16_e32 v16, v14, v16
	;; [unrolled: 1-line block ×9, first 2 shown]
	v_fma_f16 v25, v25, 2.0, -v23
	v_fma_f16 v32, v57, 2.0, -v24
	v_sub_f16_e32 v22, v20, v22
	v_fma_f16 v13, v13, 2.0, -v15
	v_fma_f16 v14, v14, 2.0, -v16
	v_sub_f16_e32 v33, v15, v24
	v_fma_f16 v24, v50, 2.0, -v26
	v_fma_f16 v35, v38, 2.0, -v18
	;; [unrolled: 1-line block ×4, first 2 shown]
	v_add_f16_e32 v19, v26, v19
	v_sub_f16_e32 v29, v18, v29
	v_fma_f16 v37, v42, 2.0, -v30
	v_fma_f16 v38, v63, 2.0, -v21
	v_add_f16_e32 v16, v23, v16
	v_sub_f16_e32 v39, v31, v21
	v_sub_f16_e32 v21, v25, v32
	v_fma_f16 v34, v34, 2.0, -v31
	v_fma_f16 v20, v20, 2.0, -v22
	v_add_f16_e32 v22, v30, v22
	v_sub_f16_e32 v32, v13, v14
	v_fma_f16 v40, v15, 2.0, -v33
	v_sub_f16_e32 v15, v24, v36
	v_sub_f16_e32 v36, v35, v17
	v_fma_f16 v17, v26, 2.0, -v19
	v_fma_f16 v26, v18, 2.0, -v29
	v_sub_f16_e32 v18, v37, v38
	v_fma_f16 v14, v23, 2.0, -v16
	v_fma_f16 v23, v25, 2.0, -v21
	;; [unrolled: 3-line block ×3, first 2 shown]
	v_fma_f16 v13, v24, 2.0, -v15
	v_fma_f16 v24, v37, 2.0, -v18
	ds_store_b16 v27, v23
	ds_store_b16 v27, v14 offset:48
	ds_store_b16 v27, v21 offset:96
	ds_store_b16 v27, v16 offset:144
	ds_store_b16 v5, v13
	ds_store_b16 v5, v17 offset:48
	ds_store_b16 v5, v15 offset:96
	ds_store_b16 v5, v19 offset:144
	;; [unrolled: 4-line block ×3, first 2 shown]
	s_waitcnt lgkmcnt(0)
	s_barrier
	buffer_gl0_inv
	ds_load_u16 v18, v0
	ds_load_u16 v21, v10 offset:192
	ds_load_u16 v14, v10 offset:256
	;; [unrolled: 1-line block ×4, first 2 shown]
	ds_load_u16 v16, v12
	ds_load_u16 v23, v10 offset:576
	ds_load_u16 v22, v10 offset:512
	;; [unrolled: 1-line block ×4, first 2 shown]
	ds_load_u16 v13, v11
	ds_load_u16 v20, v10 offset:704
	v_fma_f16 v30, v35, 2.0, -v36
	v_fma_f16 v34, v34, 2.0, -v38
	v_fma_f16 v31, v31, 2.0, -v39
	s_waitcnt lgkmcnt(0)
	s_barrier
	buffer_gl0_inv
	ds_store_b16 v27, v25
	ds_store_b16 v27, v40 offset:48
	ds_store_b16 v27, v32 offset:96
	ds_store_b16 v27, v33 offset:144
	ds_store_b16 v5, v30
	ds_store_b16 v5, v26 offset:48
	ds_store_b16 v5, v36 offset:96
	ds_store_b16 v5, v29 offset:144
	;; [unrolled: 4-line block ×3, first 2 shown]
	s_waitcnt lgkmcnt(0)
	s_barrier
	buffer_gl0_inv
	s_and_saveexec_b32 s0, vcc_lo
	s_cbranch_execz .LBB0_15
; %bb.14:
	v_mul_u32_u24_e32 v5, 3, v7
	v_mul_lo_u32 v34, s2, v4
	v_mul_hi_u32 v35, 0xaaaaaaab, v7
	v_add_nc_u32_e32 v36, 64, v7
	s_delay_alu instid0(VALU_DEP_4) | instskip(SKIP_1) | instid1(VALU_DEP_4)
	v_lshlrev_b32_e32 v25, 2, v5
	v_mul_i32_i24_e32 v5, 3, v9
	v_lshrrev_b32_e32 v35, 6, v35
	s_delay_alu instid0(VALU_DEP_2)
	v_lshlrev_b64 v[28:29], 2, v[5:6]
	v_mul_i32_i24_e32 v5, 3, v8
	global_load_b96 v[25:27], v25, s[8:9] offset:360
	v_mul_lo_u32 v35, 0x60, v35
	v_lshlrev_b64 v[8:9], 2, v[5:6]
	v_add_co_u32 v28, vcc_lo, s8, v28
	v_add_co_ci_u32_e32 v29, vcc_lo, s9, v29, vcc_lo
	v_mad_u64_u32 v[4:5], null, s2, v3, 0
	s_delay_alu instid0(VALU_DEP_4)
	v_add_co_u32 v8, vcc_lo, s8, v8
	global_load_b96 v[28:30], v[28:29], off offset:360
	v_add_co_ci_u32_e32 v9, vcc_lo, s9, v9, vcc_lo
	global_load_b96 v[31:33], v[8:9], off offset:360
	ds_load_u16 v12, v12
	ds_load_u16 v42, v11
	ds_load_u16 v43, v10 offset:704
	ds_load_u16 v44, v10 offset:640
	;; [unrolled: 1-line block ×3, first 2 shown]
	v_dual_mov_b32 v8, v6 :: v_dual_add_nc_u32 v11, 32, v7
	v_mul_lo_u32 v9, s3, v3
	ds_load_u16 v46, v10 offset:512
	ds_load_u16 v47, v10 offset:448
	;; [unrolled: 1-line block ×6, first 2 shown]
	ds_load_u16 v52, v0
	v_mul_hi_u32 v3, 0xaaaaaaab, v11
	v_lshlrev_b64 v[0:1], 2, v[1:2]
	v_sub_nc_u32_e32 v7, v7, v35
	v_mov_b32_e32 v2, v6
	v_add3_u32 v5, v5, v34, v9
	v_mov_b32_e32 v9, v6
	v_lshrrev_b32_e32 v37, 6, v3
	v_mov_b32_e32 v3, v6
	v_mul_hi_u32 v10, 0xaaaaaaab, v36
	v_lshlrev_b64 v[4:5], 2, v[4:5]
	s_delay_alu instid0(VALU_DEP_4) | instskip(SKIP_1) | instid1(VALU_DEP_3)
	v_mul_lo_u32 v34, 0x60, v37
	v_mul_lo_u32 v37, 0x180, v37
	v_add_co_u32 v4, vcc_lo, s6, v4
	v_lshrrev_b32_e32 v10, 6, v10
	s_delay_alu instid0(VALU_DEP_4) | instskip(SKIP_1) | instid1(VALU_DEP_3)
	v_sub_nc_u32_e32 v11, v11, v34
	v_add_co_ci_u32_e32 v34, vcc_lo, s7, v5, vcc_lo
	v_mul_lo_u32 v40, 0x180, v10
	v_mul_lo_u32 v10, 0x60, v10
	s_delay_alu instid0(VALU_DEP_4) | instskip(SKIP_3) | instid1(VALU_DEP_4)
	v_or_b32_e32 v5, v37, v11
	v_add_co_u32 v53, vcc_lo, v4, v0
	v_lshlrev_b32_e32 v0, 2, v7
	v_add_co_ci_u32_e32 v54, vcc_lo, v34, v1, vcc_lo
	v_add_nc_u32_e32 v1, 0x60, v5
	v_sub_nc_u32_e32 v4, v36, v10
	v_lshlrev_b64 v[10:11], 2, v[5:6]
	v_add_nc_u32_e32 v7, 0xc0, v5
	v_add_nc_u32_e32 v5, 0x120, v5
	v_add_co_u32 v34, vcc_lo, v53, v0
	v_lshlrev_b64 v[0:1], 2, v[1:2]
	v_add_co_ci_u32_e32 v35, vcc_lo, 0, v54, vcc_lo
	s_delay_alu instid0(VALU_DEP_4)
	v_lshlrev_b64 v[38:39], 2, v[5:6]
	v_or_b32_e32 v5, v40, v4
	v_lshlrev_b64 v[36:37], 2, v[7:8]
	v_add_co_u32 v10, vcc_lo, v53, v10
	v_add_co_ci_u32_e32 v11, vcc_lo, v54, v11, vcc_lo
	v_add_co_u32 v0, vcc_lo, v53, v0
	v_add_nc_u32_e32 v2, 0x60, v5
	v_add_co_ci_u32_e32 v1, vcc_lo, v54, v1, vcc_lo
	v_lshlrev_b64 v[40:41], 2, v[5:6]
	v_add_co_u32 v36, vcc_lo, v53, v36
	v_add_nc_u32_e32 v8, 0xc0, v5
	v_add_co_ci_u32_e32 v37, vcc_lo, v54, v37, vcc_lo
	v_add_co_u32 v38, vcc_lo, v53, v38
	v_lshlrev_b64 v[2:3], 2, v[2:3]
	v_add_co_ci_u32_e32 v39, vcc_lo, v54, v39, vcc_lo
	v_add_nc_u32_e32 v5, 0x120, v5
	v_lshlrev_b64 v[7:8], 2, v[8:9]
	v_add_co_u32 v40, vcc_lo, v53, v40
	v_add_co_ci_u32_e32 v41, vcc_lo, v54, v41, vcc_lo
	v_add_co_u32 v2, vcc_lo, v53, v2
	v_lshlrev_b64 v[4:5], 2, v[5:6]
	v_add_co_ci_u32_e32 v3, vcc_lo, v54, v3, vcc_lo
	v_add_co_u32 v6, vcc_lo, v53, v7
	v_add_co_ci_u32_e32 v7, vcc_lo, v54, v8, vcc_lo
	s_delay_alu instid0(VALU_DEP_4)
	v_add_co_u32 v4, vcc_lo, v53, v4
	v_add_co_ci_u32_e32 v5, vcc_lo, v54, v5, vcc_lo
	s_waitcnt vmcnt(2)
	v_lshrrev_b32_e32 v8, 16, v25
	v_lshrrev_b32_e32 v9, 16, v26
	;; [unrolled: 1-line block ×3, first 2 shown]
	v_mul_f16_e32 v56, v24, v26
	s_delay_alu instid0(VALU_DEP_4)
	v_mul_f16_e32 v53, v21, v8
	s_waitcnt lgkmcnt(1)
	v_mul_f16_e32 v8, v51, v8
	v_mul_f16_e32 v54, v23, v55
	v_fmac_f16_e32 v56, v48, v9
	v_mul_f16_e32 v9, v24, v9
	v_mul_f16_e32 v24, v45, v55
	v_fma_f16 v51, v51, v25, -v53
	v_fma_f16 v45, v45, v27, -v54
	s_waitcnt vmcnt(1)
	v_lshrrev_b32_e32 v55, 16, v28
	v_lshrrev_b32_e32 v58, 16, v30
	;; [unrolled: 1-line block ×3, first 2 shown]
	v_mul_f16_e32 v59, v22, v29
	v_fma_f16 v9, v48, v26, -v9
	v_fmac_f16_e32 v8, v21, v25
	v_fmac_f16_e32 v24, v23, v27
	v_mul_f16_e32 v21, v19, v55
	v_mul_f16_e32 v23, v20, v58
	;; [unrolled: 1-line block ×4, first 2 shown]
	s_waitcnt vmcnt(0)
	v_lshrrev_b32_e32 v27, 16, v31
	v_lshrrev_b32_e32 v48, 16, v32
	;; [unrolled: 1-line block ×3, first 2 shown]
	v_sub_f16_e32 v56, v18, v56
	v_fmac_f16_e32 v59, v46, v57
	v_mul_f16_e32 v22, v22, v57
	v_mul_f16_e32 v54, v17, v32
	v_sub_f16_e32 v45, v51, v45
	s_waitcnt lgkmcnt(0)
	v_sub_f16_e32 v9, v52, v9
	v_sub_f16_e32 v24, v8, v24
	v_fma_f16 v21, v49, v28, -v21
	v_fma_f16 v23, v43, v30, -v23
	v_fmac_f16_e32 v25, v19, v28
	v_fmac_f16_e32 v26, v20, v30
	v_mul_f16_e32 v19, v14, v27
	v_mul_f16_e32 v20, v15, v53
	v_mul_f16_e32 v17, v17, v48
	v_mul_f16_e32 v27, v50, v27
	v_mul_f16_e32 v28, v44, v53
	v_sub_f16_e32 v55, v16, v59
	v_fma_f16 v22, v46, v29, -v22
	v_fmac_f16_e32 v54, v47, v48
	v_add_f16_e32 v29, v56, v45
	v_sub_f16_e32 v30, v9, v24
	v_sub_f16_e32 v23, v21, v23
	v_fma_f16 v19, v50, v31, -v19
	v_fma_f16 v20, v44, v33, -v20
	;; [unrolled: 1-line block ×3, first 2 shown]
	v_fmac_f16_e32 v27, v14, v31
	v_fmac_f16_e32 v28, v15, v33
	v_fma_f16 v18, v18, 2.0, -v56
	v_fma_f16 v8, v8, 2.0, -v24
	;; [unrolled: 1-line block ×4, first 2 shown]
	v_sub_f16_e32 v22, v12, v22
	v_sub_f16_e32 v26, v25, v26
	;; [unrolled: 1-line block ×3, first 2 shown]
	v_fma_f16 v14, v56, 2.0, -v29
	v_fma_f16 v9, v9, 2.0, -v30
	v_pack_b32_f16 v29, v29, v30
	v_add_f16_e32 v30, v55, v23
	v_fma_f16 v21, v21, 2.0, -v23
	v_sub_f16_e32 v20, v19, v20
	v_sub_f16_e32 v17, v42, v17
	;; [unrolled: 1-line block ×3, first 2 shown]
	v_fma_f16 v16, v16, 2.0, -v55
	v_sub_f16_e32 v8, v18, v8
	v_sub_f16_e32 v15, v24, v43
	;; [unrolled: 1-line block ×3, first 2 shown]
	v_fma_f16 v25, v25, 2.0, -v26
	v_fma_f16 v13, v13, 2.0, -v45
	v_sub_f16_e32 v26, v17, v23
	v_fma_f16 v23, v27, 2.0, -v23
	v_fma_f16 v27, v42, 2.0, -v17
	;; [unrolled: 1-line block ×6, first 2 shown]
	v_pack_b32_f16 v8, v8, v15
	v_fma_f16 v15, v22, 2.0, -v31
	v_sub_f16_e32 v22, v16, v25
	v_add_f16_e32 v25, v45, v20
	v_sub_f16_e32 v23, v13, v23
	v_sub_f16_e32 v19, v27, v19
	;; [unrolled: 1-line block ×3, first 2 shown]
	v_pack_b32_f16 v18, v18, v24
	v_fma_f16 v24, v45, 2.0, -v25
	v_fma_f16 v17, v17, 2.0, -v26
	v_pack_b32_f16 v25, v25, v26
	v_fma_f16 v13, v13, 2.0, -v23
	v_fma_f16 v26, v27, 2.0, -v19
	v_fma_f16 v16, v16, 2.0, -v22
	v_fma_f16 v12, v12, 2.0, -v21
	v_pack_b32_f16 v9, v14, v9
	v_fma_f16 v14, v55, 2.0, -v30
	v_pack_b32_f16 v13, v13, v26
	v_pack_b32_f16 v17, v24, v17
	;; [unrolled: 1-line block ×3, first 2 shown]
	s_clause 0x3
	global_store_b32 v[34:35], v18, off
	global_store_b32 v[34:35], v9, off offset:384
	global_store_b32 v[34:35], v8, off offset:768
	;; [unrolled: 1-line block ×3, first 2 shown]
	v_pack_b32_f16 v8, v16, v12
	v_pack_b32_f16 v20, v30, v31
	;; [unrolled: 1-line block ×4, first 2 shown]
	s_clause 0x7
	global_store_b32 v[10:11], v13, off
	global_store_b32 v[0:1], v17, off
	;; [unrolled: 1-line block ×8, first 2 shown]
.LBB0_15:
	s_nop 0
	s_sendmsg sendmsg(MSG_DEALLOC_VGPRS)
	s_endpgm
	.section	.rodata,"a",@progbits
	.p2align	6, 0x0
	.amdhsa_kernel fft_rtc_back_len384_factors_6_4_4_4_wgs_128_tpt_32_halfLds_half_op_CI_CI_unitstride_sbrr_dirReg
		.amdhsa_group_segment_fixed_size 0
		.amdhsa_private_segment_fixed_size 0
		.amdhsa_kernarg_size 104
		.amdhsa_user_sgpr_count 15
		.amdhsa_user_sgpr_dispatch_ptr 0
		.amdhsa_user_sgpr_queue_ptr 0
		.amdhsa_user_sgpr_kernarg_segment_ptr 1
		.amdhsa_user_sgpr_dispatch_id 0
		.amdhsa_user_sgpr_private_segment_size 0
		.amdhsa_wavefront_size32 1
		.amdhsa_uses_dynamic_stack 0
		.amdhsa_enable_private_segment 0
		.amdhsa_system_sgpr_workgroup_id_x 1
		.amdhsa_system_sgpr_workgroup_id_y 0
		.amdhsa_system_sgpr_workgroup_id_z 0
		.amdhsa_system_sgpr_workgroup_info 0
		.amdhsa_system_vgpr_workitem_id 0
		.amdhsa_next_free_vgpr 76
		.amdhsa_next_free_sgpr 27
		.amdhsa_reserve_vcc 1
		.amdhsa_float_round_mode_32 0
		.amdhsa_float_round_mode_16_64 0
		.amdhsa_float_denorm_mode_32 3
		.amdhsa_float_denorm_mode_16_64 3
		.amdhsa_dx10_clamp 1
		.amdhsa_ieee_mode 1
		.amdhsa_fp16_overflow 0
		.amdhsa_workgroup_processor_mode 1
		.amdhsa_memory_ordered 1
		.amdhsa_forward_progress 0
		.amdhsa_shared_vgpr_count 0
		.amdhsa_exception_fp_ieee_invalid_op 0
		.amdhsa_exception_fp_denorm_src 0
		.amdhsa_exception_fp_ieee_div_zero 0
		.amdhsa_exception_fp_ieee_overflow 0
		.amdhsa_exception_fp_ieee_underflow 0
		.amdhsa_exception_fp_ieee_inexact 0
		.amdhsa_exception_int_div_zero 0
	.end_amdhsa_kernel
	.text
.Lfunc_end0:
	.size	fft_rtc_back_len384_factors_6_4_4_4_wgs_128_tpt_32_halfLds_half_op_CI_CI_unitstride_sbrr_dirReg, .Lfunc_end0-fft_rtc_back_len384_factors_6_4_4_4_wgs_128_tpt_32_halfLds_half_op_CI_CI_unitstride_sbrr_dirReg
                                        ; -- End function
	.section	.AMDGPU.csdata,"",@progbits
; Kernel info:
; codeLenInByte = 6456
; NumSgprs: 29
; NumVgprs: 76
; ScratchSize: 0
; MemoryBound: 0
; FloatMode: 240
; IeeeMode: 1
; LDSByteSize: 0 bytes/workgroup (compile time only)
; SGPRBlocks: 3
; VGPRBlocks: 9
; NumSGPRsForWavesPerEU: 29
; NumVGPRsForWavesPerEU: 76
; Occupancy: 16
; WaveLimiterHint : 1
; COMPUTE_PGM_RSRC2:SCRATCH_EN: 0
; COMPUTE_PGM_RSRC2:USER_SGPR: 15
; COMPUTE_PGM_RSRC2:TRAP_HANDLER: 0
; COMPUTE_PGM_RSRC2:TGID_X_EN: 1
; COMPUTE_PGM_RSRC2:TGID_Y_EN: 0
; COMPUTE_PGM_RSRC2:TGID_Z_EN: 0
; COMPUTE_PGM_RSRC2:TIDIG_COMP_CNT: 0
	.text
	.p2alignl 7, 3214868480
	.fill 96, 4, 3214868480
	.type	__hip_cuid_ce04b41a69d5d99f,@object ; @__hip_cuid_ce04b41a69d5d99f
	.section	.bss,"aw",@nobits
	.globl	__hip_cuid_ce04b41a69d5d99f
__hip_cuid_ce04b41a69d5d99f:
	.byte	0                               ; 0x0
	.size	__hip_cuid_ce04b41a69d5d99f, 1

	.ident	"AMD clang version 19.0.0git (https://github.com/RadeonOpenCompute/llvm-project roc-6.4.0 25133 c7fe45cf4b819c5991fe208aaa96edf142730f1d)"
	.section	".note.GNU-stack","",@progbits
	.addrsig
	.addrsig_sym __hip_cuid_ce04b41a69d5d99f
	.amdgpu_metadata
---
amdhsa.kernels:
  - .args:
      - .actual_access:  read_only
        .address_space:  global
        .offset:         0
        .size:           8
        .value_kind:     global_buffer
      - .offset:         8
        .size:           8
        .value_kind:     by_value
      - .actual_access:  read_only
        .address_space:  global
        .offset:         16
        .size:           8
        .value_kind:     global_buffer
      - .actual_access:  read_only
        .address_space:  global
        .offset:         24
        .size:           8
        .value_kind:     global_buffer
      - .actual_access:  read_only
        .address_space:  global
        .offset:         32
        .size:           8
        .value_kind:     global_buffer
      - .offset:         40
        .size:           8
        .value_kind:     by_value
      - .actual_access:  read_only
        .address_space:  global
        .offset:         48
        .size:           8
        .value_kind:     global_buffer
      - .actual_access:  read_only
        .address_space:  global
        .offset:         56
        .size:           8
        .value_kind:     global_buffer
      - .offset:         64
        .size:           4
        .value_kind:     by_value
      - .actual_access:  read_only
        .address_space:  global
        .offset:         72
        .size:           8
        .value_kind:     global_buffer
      - .actual_access:  read_only
        .address_space:  global
        .offset:         80
        .size:           8
        .value_kind:     global_buffer
      - .actual_access:  read_only
        .address_space:  global
        .offset:         88
        .size:           8
        .value_kind:     global_buffer
      - .actual_access:  write_only
        .address_space:  global
        .offset:         96
        .size:           8
        .value_kind:     global_buffer
    .group_segment_fixed_size: 0
    .kernarg_segment_align: 8
    .kernarg_segment_size: 104
    .language:       OpenCL C
    .language_version:
      - 2
      - 0
    .max_flat_workgroup_size: 128
    .name:           fft_rtc_back_len384_factors_6_4_4_4_wgs_128_tpt_32_halfLds_half_op_CI_CI_unitstride_sbrr_dirReg
    .private_segment_fixed_size: 0
    .sgpr_count:     29
    .sgpr_spill_count: 0
    .symbol:         fft_rtc_back_len384_factors_6_4_4_4_wgs_128_tpt_32_halfLds_half_op_CI_CI_unitstride_sbrr_dirReg.kd
    .uniform_work_group_size: 1
    .uses_dynamic_stack: false
    .vgpr_count:     76
    .vgpr_spill_count: 0
    .wavefront_size: 32
    .workgroup_processor_mode: 1
amdhsa.target:   amdgcn-amd-amdhsa--gfx1100
amdhsa.version:
  - 1
  - 2
...

	.end_amdgpu_metadata
